;; amdgpu-corpus repo=ROCm/rocFFT kind=compiled arch=gfx950 opt=O3
	.text
	.amdgcn_target "amdgcn-amd-amdhsa--gfx950"
	.amdhsa_code_object_version 6
	.protected	fft_rtc_back_len4096_factors_16_16_16_wgs_256_tpt_256_halfLds_sp_ip_CI_sbrr_dirReg ; -- Begin function fft_rtc_back_len4096_factors_16_16_16_wgs_256_tpt_256_halfLds_sp_ip_CI_sbrr_dirReg
	.globl	fft_rtc_back_len4096_factors_16_16_16_wgs_256_tpt_256_halfLds_sp_ip_CI_sbrr_dirReg
	.p2align	8
	.type	fft_rtc_back_len4096_factors_16_16_16_wgs_256_tpt_256_halfLds_sp_ip_CI_sbrr_dirReg,@function
fft_rtc_back_len4096_factors_16_16_16_wgs_256_tpt_256_halfLds_sp_ip_CI_sbrr_dirReg: ; @fft_rtc_back_len4096_factors_16_16_16_wgs_256_tpt_256_halfLds_sp_ip_CI_sbrr_dirReg
; %bb.0:
	s_load_dwordx2 s[12:13], s[0:1], 0x18
	s_load_dwordx4 s[4:7], s[0:1], 0x0
	s_load_dwordx2 s[10:11], s[0:1], 0x50
	v_mov_b32_e32 v6, s2
	v_mov_b32_e32 v4, 0
	s_waitcnt lgkmcnt(0)
	s_load_dwordx2 s[8:9], s[12:13], 0x0
	v_cmp_lt_u64_e64 s[2:3], s[6:7], 2
	v_mov_b32_e32 v7, v4
	s_and_b64 vcc, exec, s[2:3]
	v_mov_b64_e32 v[2:3], 0
	s_cbranch_vccnz .LBB0_8
; %bb.1:
	s_load_dwordx2 s[2:3], s[0:1], 0x10
	s_add_u32 s14, s12, 8
	s_addc_u32 s15, s13, 0
	s_mov_b64 s[16:17], 1
	v_mov_b64_e32 v[2:3], 0
	s_waitcnt lgkmcnt(0)
	s_add_u32 s18, s2, 8
	s_addc_u32 s19, s3, 0
.LBB0_2:                                ; =>This Inner Loop Header: Depth=1
	s_load_dwordx2 s[20:21], s[18:19], 0x0
                                        ; implicit-def: $vgpr8_vgpr9
	s_waitcnt lgkmcnt(0)
	v_or_b32_e32 v5, s21, v7
	v_cmp_ne_u64_e32 vcc, 0, v[4:5]
	s_and_saveexec_b64 s[2:3], vcc
	s_xor_b64 s[22:23], exec, s[2:3]
	s_cbranch_execz .LBB0_4
; %bb.3:                                ;   in Loop: Header=BB0_2 Depth=1
	v_cvt_f32_u32_e32 v1, s20
	v_cvt_f32_u32_e32 v5, s21
	s_sub_u32 s2, 0, s20
	s_subb_u32 s3, 0, s21
	v_fmac_f32_e32 v1, 0x4f800000, v5
	v_rcp_f32_e32 v1, v1
	s_nop 0
	v_mul_f32_e32 v1, 0x5f7ffffc, v1
	v_mul_f32_e32 v5, 0x2f800000, v1
	v_trunc_f32_e32 v5, v5
	v_fmac_f32_e32 v1, 0xcf800000, v5
	v_cvt_u32_f32_e32 v5, v5
	v_cvt_u32_f32_e32 v1, v1
	v_mul_lo_u32 v8, s2, v5
	v_mul_hi_u32 v10, s2, v1
	v_mul_lo_u32 v9, s3, v1
	v_add_u32_e32 v10, v10, v8
	v_mul_lo_u32 v12, s2, v1
	v_add_u32_e32 v13, v10, v9
	v_mul_hi_u32 v8, v1, v12
	v_mul_hi_u32 v11, v1, v13
	v_mul_lo_u32 v10, v1, v13
	v_mov_b32_e32 v9, v4
	v_lshl_add_u64 v[8:9], v[8:9], 0, v[10:11]
	v_mul_hi_u32 v11, v5, v12
	v_mul_lo_u32 v12, v5, v12
	v_add_co_u32_e32 v8, vcc, v8, v12
	v_mul_hi_u32 v10, v5, v13
	s_nop 0
	v_addc_co_u32_e32 v8, vcc, v9, v11, vcc
	v_mov_b32_e32 v9, v4
	s_nop 0
	v_addc_co_u32_e32 v11, vcc, 0, v10, vcc
	v_mul_lo_u32 v10, v5, v13
	v_lshl_add_u64 v[8:9], v[8:9], 0, v[10:11]
	v_add_co_u32_e32 v1, vcc, v1, v8
	v_mul_lo_u32 v10, s2, v1
	s_nop 0
	v_addc_co_u32_e32 v5, vcc, v5, v9, vcc
	v_mul_lo_u32 v8, s2, v5
	v_mul_hi_u32 v9, s2, v1
	v_add_u32_e32 v8, v9, v8
	v_mul_lo_u32 v9, s3, v1
	v_add_u32_e32 v12, v8, v9
	v_mul_hi_u32 v14, v5, v10
	v_mul_lo_u32 v15, v5, v10
	v_mul_hi_u32 v9, v1, v12
	v_mul_lo_u32 v8, v1, v12
	v_mul_hi_u32 v10, v1, v10
	v_mov_b32_e32 v11, v4
	v_lshl_add_u64 v[8:9], v[10:11], 0, v[8:9]
	v_add_co_u32_e32 v8, vcc, v8, v15
	v_mul_hi_u32 v13, v5, v12
	s_nop 0
	v_addc_co_u32_e32 v8, vcc, v9, v14, vcc
	v_mul_lo_u32 v10, v5, v12
	s_nop 0
	v_addc_co_u32_e32 v11, vcc, 0, v13, vcc
	v_mov_b32_e32 v9, v4
	v_lshl_add_u64 v[8:9], v[8:9], 0, v[10:11]
	v_add_co_u32_e32 v1, vcc, v1, v8
	v_mul_hi_u32 v10, v6, v1
	s_nop 0
	v_addc_co_u32_e32 v5, vcc, v5, v9, vcc
	v_mad_u64_u32 v[8:9], s[2:3], v6, v5, 0
	v_mov_b32_e32 v11, v4
	v_lshl_add_u64 v[8:9], v[10:11], 0, v[8:9]
	v_mad_u64_u32 v[12:13], s[2:3], v7, v1, 0
	v_add_co_u32_e32 v1, vcc, v8, v12
	v_mad_u64_u32 v[10:11], s[2:3], v7, v5, 0
	s_nop 0
	v_addc_co_u32_e32 v8, vcc, v9, v13, vcc
	v_mov_b32_e32 v9, v4
	s_nop 0
	v_addc_co_u32_e32 v11, vcc, 0, v11, vcc
	v_lshl_add_u64 v[8:9], v[8:9], 0, v[10:11]
	v_mul_lo_u32 v1, s21, v8
	v_mul_lo_u32 v5, s20, v9
	v_mad_u64_u32 v[10:11], s[2:3], s20, v8, 0
	v_add3_u32 v1, v11, v5, v1
	v_sub_u32_e32 v5, v7, v1
	v_mov_b32_e32 v11, s21
	v_sub_co_u32_e32 v14, vcc, v6, v10
	v_lshl_add_u64 v[12:13], v[8:9], 0, 1
	s_nop 0
	v_subb_co_u32_e64 v5, s[2:3], v5, v11, vcc
	v_subrev_co_u32_e64 v10, s[2:3], s20, v14
	v_subb_co_u32_e32 v1, vcc, v7, v1, vcc
	s_nop 0
	v_subbrev_co_u32_e64 v5, s[2:3], 0, v5, s[2:3]
	v_cmp_le_u32_e64 s[2:3], s21, v5
	v_cmp_le_u32_e32 vcc, s21, v1
	s_nop 0
	v_cndmask_b32_e64 v11, 0, -1, s[2:3]
	v_cmp_le_u32_e64 s[2:3], s20, v10
	s_nop 1
	v_cndmask_b32_e64 v10, 0, -1, s[2:3]
	v_cmp_eq_u32_e64 s[2:3], s21, v5
	s_nop 1
	v_cndmask_b32_e64 v5, v11, v10, s[2:3]
	v_lshl_add_u64 v[10:11], v[8:9], 0, 2
	v_cmp_ne_u32_e64 s[2:3], 0, v5
	s_nop 1
	v_cndmask_b32_e64 v5, v13, v11, s[2:3]
	v_cndmask_b32_e64 v11, 0, -1, vcc
	v_cmp_le_u32_e32 vcc, s20, v14
	s_nop 1
	v_cndmask_b32_e64 v13, 0, -1, vcc
	v_cmp_eq_u32_e32 vcc, s21, v1
	s_nop 1
	v_cndmask_b32_e32 v1, v11, v13, vcc
	v_cmp_ne_u32_e32 vcc, 0, v1
	v_cndmask_b32_e64 v1, v12, v10, s[2:3]
	s_nop 0
	v_cndmask_b32_e32 v9, v9, v5, vcc
	v_cndmask_b32_e32 v8, v8, v1, vcc
.LBB0_4:                                ;   in Loop: Header=BB0_2 Depth=1
	s_andn2_saveexec_b64 s[2:3], s[22:23]
	s_cbranch_execz .LBB0_6
; %bb.5:                                ;   in Loop: Header=BB0_2 Depth=1
	v_cvt_f32_u32_e32 v1, s20
	s_sub_i32 s22, 0, s20
	v_rcp_iflag_f32_e32 v1, v1
	s_nop 0
	v_mul_f32_e32 v1, 0x4f7ffffe, v1
	v_cvt_u32_f32_e32 v1, v1
	v_mul_lo_u32 v5, s22, v1
	v_mul_hi_u32 v5, v1, v5
	v_add_u32_e32 v1, v1, v5
	v_mul_hi_u32 v1, v6, v1
	v_mul_lo_u32 v5, v1, s20
	v_sub_u32_e32 v5, v6, v5
	v_add_u32_e32 v8, 1, v1
	v_subrev_u32_e32 v9, s20, v5
	v_cmp_le_u32_e32 vcc, s20, v5
	s_nop 1
	v_cndmask_b32_e32 v5, v5, v9, vcc
	v_cndmask_b32_e32 v1, v1, v8, vcc
	v_add_u32_e32 v8, 1, v1
	v_cmp_le_u32_e32 vcc, s20, v5
	v_mov_b32_e32 v9, v4
	s_nop 0
	v_cndmask_b32_e32 v8, v1, v8, vcc
.LBB0_6:                                ;   in Loop: Header=BB0_2 Depth=1
	s_or_b64 exec, exec, s[2:3]
	v_mad_u64_u32 v[10:11], s[2:3], v8, s20, 0
	s_load_dwordx2 s[2:3], s[14:15], 0x0
	v_mul_lo_u32 v1, v9, s20
	v_mul_lo_u32 v5, v8, s21
	v_add3_u32 v1, v11, v5, v1
	v_sub_co_u32_e32 v5, vcc, v6, v10
	s_add_u32 s16, s16, 1
	s_nop 0
	v_subb_co_u32_e32 v1, vcc, v7, v1, vcc
	s_addc_u32 s17, s17, 0
	s_waitcnt lgkmcnt(0)
	v_mul_lo_u32 v1, s2, v1
	v_mul_lo_u32 v6, s3, v5
	v_mad_u64_u32 v[2:3], s[2:3], s2, v5, v[2:3]
	s_add_u32 s14, s14, 8
	v_add3_u32 v3, v6, v3, v1
	s_addc_u32 s15, s15, 0
	v_mov_b64_e32 v[6:7], s[6:7]
	s_add_u32 s18, s18, 8
	v_cmp_ge_u64_e32 vcc, s[16:17], v[6:7]
	s_addc_u32 s19, s19, 0
	s_cbranch_vccnz .LBB0_9
; %bb.7:                                ;   in Loop: Header=BB0_2 Depth=1
	v_mov_b64_e32 v[6:7], v[8:9]
	s_branch .LBB0_2
.LBB0_8:
	v_mov_b64_e32 v[8:9], v[6:7]
.LBB0_9:
	s_lshl_b64 s[2:3], s[6:7], 3
	s_add_u32 s2, s12, s2
	s_addc_u32 s3, s13, s3
	s_load_dwordx2 s[6:7], s[2:3], 0x0
	s_load_dwordx2 s[12:13], s[0:1], 0x20
	v_mov_b32_e32 v54, 0
                                        ; implicit-def: $vgpr31
                                        ; implicit-def: $vgpr35
                                        ; implicit-def: $vgpr16
                                        ; implicit-def: $vgpr24
                                        ; implicit-def: $vgpr20
                                        ; implicit-def: $vgpr32
                                        ; implicit-def: $vgpr23
                                        ; implicit-def: $vgpr41
                                        ; implicit-def: $vgpr37
                                        ; implicit-def: $vgpr29
                                        ; implicit-def: $vgpr38
	s_waitcnt lgkmcnt(0)
	v_mul_lo_u32 v1, s6, v9
	v_mul_lo_u32 v4, s7, v8
	v_mad_u64_u32 v[2:3], s[0:1], s6, v8, v[2:3]
	v_add3_u32 v3, v4, v3, v1
	v_cmp_gt_u64_e32 vcc, s[12:13], v[8:9]
	v_mov_b64_e32 v[8:9], 0
	v_lshl_add_u64 v[26:27], v[2:3], 3, s[10:11]
	v_mov_b64_e32 v[14:15], v[8:9]
	v_mov_b64_e32 v[6:7], v[8:9]
	;; [unrolled: 1-line block ×7, first 2 shown]
	s_and_saveexec_b64 s[0:1], vcc
	s_cbranch_execz .LBB0_11
; %bb.10:
	v_mad_u64_u32 v[2:3], s[2:3], s8, v0, 0
	v_mov_b32_e32 v4, v3
	v_mad_u64_u32 v[4:5], s[2:3], s9, v0, v[4:5]
	v_mov_b32_e32 v3, v4
	v_or_b32_e32 v1, 0x100, v0
	v_lshl_add_u64 v[4:5], v[2:3], 3, v[26:27]
	v_mad_u64_u32 v[2:3], s[2:3], s8, v1, 0
	v_mov_b32_e32 v6, v3
	v_mad_u64_u32 v[6:7], s[2:3], s9, v1, v[6:7]
	v_mov_b32_e32 v3, v6
	v_or_b32_e32 v1, 0x200, v0
	v_lshl_add_u64 v[10:11], v[2:3], 3, v[26:27]
	;; [unrolled: 6-line block ×4, first 2 shown]
	global_load_dwordx2 v[8:9], v[4:5], off
	global_load_dwordx2 v[6:7], v[10:11], off
	;; [unrolled: 1-line block ×4, first 2 shown]
	v_mad_u64_u32 v[4:5], s[2:3], s8, v1, 0
	v_mov_b32_e32 v10, v5
	v_mad_u64_u32 v[10:11], s[2:3], s9, v1, v[10:11]
	v_mov_b32_e32 v5, v10
	v_or_b32_e32 v1, 0x500, v0
	v_lshl_add_u64 v[16:17], v[4:5], 3, v[26:27]
	v_mad_u64_u32 v[4:5], s[2:3], s8, v1, 0
	v_mov_b32_e32 v10, v5
	v_mad_u64_u32 v[10:11], s[2:3], s9, v1, v[10:11]
	v_mov_b32_e32 v5, v10
	v_or_b32_e32 v1, 0x600, v0
	v_lshl_add_u64 v[20:21], v[4:5], 3, v[26:27]
	;; [unrolled: 6-line block ×4, first 2 shown]
	global_load_dwordx2 v[14:15], v[16:17], off
	global_load_dwordx2 v[10:11], v[20:21], off
	;; [unrolled: 1-line block ×4, first 2 shown]
	v_mad_u64_u32 v[16:17], s[2:3], s8, v1, 0
	v_mov_b32_e32 v20, v17
	v_mad_u64_u32 v[20:21], s[2:3], s9, v1, v[20:21]
	v_or_b32_e32 v1, 0x900, v0
	v_mov_b32_e32 v17, v20
	v_mad_u64_u32 v[20:21], s[2:3], s8, v1, 0
	v_mov_b32_e32 v22, v21
	v_mad_u64_u32 v[22:23], s[2:3], s9, v1, v[22:23]
	v_mov_b32_e32 v21, v22
	v_or_b32_e32 v1, 0xa00, v0
	v_lshl_add_u64 v[22:23], v[20:21], 3, v[26:27]
	v_mad_u64_u32 v[20:21], s[2:3], s8, v1, 0
	v_mov_b32_e32 v24, v21
	v_mad_u64_u32 v[24:25], s[2:3], s9, v1, v[24:25]
	v_mov_b32_e32 v21, v24
	v_or_b32_e32 v1, 0xb00, v0
	v_lshl_add_u64 v[28:29], v[20:21], 3, v[26:27]
	v_mad_u64_u32 v[20:21], s[2:3], s8, v1, 0
	v_mov_b32_e32 v24, v21
	v_mad_u64_u32 v[24:25], s[2:3], s9, v1, v[24:25]
	v_lshl_add_u64 v[16:17], v[16:17], 3, v[26:27]
	v_mov_b32_e32 v21, v24
	v_or_b32_e32 v1, 0xc00, v0
	v_lshl_add_u64 v[34:35], v[20:21], 3, v[26:27]
	global_load_dwordx2 v[24:25], v[16:17], off
	global_load_dwordx2 v[20:21], v[22:23], off
	;; [unrolled: 1-line block ×4, first 2 shown]
	v_mad_u64_u32 v[16:17], s[2:3], s8, v1, 0
	v_mov_b32_e32 v22, v17
	v_mad_u64_u32 v[22:23], s[2:3], s9, v1, v[22:23]
	v_or_b32_e32 v1, 0xd00, v0
	v_mov_b32_e32 v17, v22
	v_mad_u64_u32 v[22:23], s[2:3], s8, v1, 0
	v_mov_b32_e32 v28, v23
	v_mad_u64_u32 v[28:29], s[2:3], s9, v1, v[28:29]
	v_or_b32_e32 v1, 0xe00, v0
	v_mov_b32_e32 v23, v28
	v_mad_u64_u32 v[28:29], s[2:3], s8, v1, 0
	v_mov_b32_e32 v34, v29
	v_mad_u64_u32 v[34:35], s[2:3], s9, v1, v[34:35]
	v_or_b32_e32 v1, 0xf00, v0
	v_mad_u64_u32 v[38:39], s[2:3], s8, v1, 0
	v_lshl_add_u64 v[16:17], v[16:17], 3, v[26:27]
	v_mov_b32_e32 v29, v34
	v_mov_b32_e32 v42, v39
	v_lshl_add_u64 v[22:23], v[22:23], 3, v[26:27]
	v_lshl_add_u64 v[36:37], v[28:29], 3, v[26:27]
	global_load_dwordx2 v[40:41], v[16:17], off
	global_load_dwordx2 v[28:29], v[22:23], off
	;; [unrolled: 1-line block ×3, first 2 shown]
	v_mad_u64_u32 v[16:17], s[2:3], s9, v1, v[42:43]
	v_mov_b32_e32 v39, v16
	v_lshl_add_u64 v[16:17], v[38:39], 3, v[26:27]
	global_load_dwordx2 v[38:39], v[16:17], off
	v_mov_b32_e32 v54, v0
	s_waitcnt vmcnt(5)
	v_mov_b32_e32 v17, v30
	s_waitcnt vmcnt(3)
	;; [unrolled: 2-line block ×4, first 2 shown]
	v_mov_b32_e32 v16, v34
.LBB0_11:
	s_or_b64 exec, exec, s[0:1]
	v_sub_f32_e32 v42, v8, v24
	v_sub_f32_e32 v24, v3, v31
	;; [unrolled: 1-line block ×3, first 2 shown]
	s_waitcnt vmcnt(0)
	v_sub_f32_e32 v31, v18, v38
	v_sub_f32_e32 v51, v5, v35
	v_fma_f32 v28, v12, 2.0, -v1
	v_fma_f32 v12, v18, 2.0, -v31
	v_add_f32_e32 v43, v8, v8
	v_sub_f32_e32 v22, v15, v41
	v_add_f32_e32 v8, v15, v15
	v_fma_f32 v15, v3, 2.0, -v24
	v_fma_f32 v3, v5, 2.0, -v51
	v_sub_f32_e32 v5, v13, v33
	v_sub_f32_e32 v12, v28, v12
	v_add_f32_e32 v30, v6, v6
	v_fma_f32 v32, v28, 2.0, -v12
	v_sub_f32_e32 v38, v5, v31
	v_sub_f32_e32 v28, v6, v20
	;; [unrolled: 1-line block ×3, first 2 shown]
	v_mov_b32_e32 v31, v11
	v_fma_f32 v20, v7, 2.0, -v21
	v_pk_add_f32 v[6:7], v[30:31], v[28:29] neg_lo:[0,1] neg_hi:[0,1]
	v_add_f32_e32 v34, v11, v11
	v_mov_b32_e32 v35, v10
	v_mov_b32_e32 v36, v7
	v_pk_add_f32 v[30:31], v[34:35], v[36:37] neg_lo:[0,1] neg_hi:[0,1]
	v_sub_f32_e32 v33, v19, v39
	v_fma_f32 v10, v10, 2.0, -v31
	v_mov_b32_e32 v11, v28
	v_fma_f32 v18, v19, 2.0, -v33
	v_add_f32_e32 v33, v1, v33
	v_pk_add_f32 v[34:35], v[6:7], v[10:11] neg_lo:[0,1] neg_hi:[0,1]
	v_pk_add_f32 v[10:11], v[6:7], v[10:11]
	v_fma_f32 v13, v13, 2.0, -v5
	v_fma_f32 v48, v1, 2.0, -v33
	v_fma_f32 v10, v28, 2.0, -v11
	v_sub_f32_e32 v18, v13, v18
	v_fma_f32 v5, v5, 2.0, -v38
	v_sub_f32_e32 v41, v9, v25
	v_pk_add_f32 v[30:31], v[20:21], v[30:31] neg_lo:[0,1] neg_hi:[0,1]
	v_fmamk_f32 v7, v48, 0xbf3504f3, v10
	v_add_f32_e32 v47, v14, v14
	v_fma_f32 v39, v13, 2.0, -v18
	v_mul_f32_e32 v13, 0x3f3504f3, v33
	v_fma_f32 v40, v9, 2.0, -v41
	v_mov_b32_e32 v9, v14
	v_fma_f32 v29, v20, 2.0, -v30
	v_fma_f32 v14, v21, 2.0, -v31
	v_fmac_f32_e32 v7, 0x3f3504f3, v5
	v_fmamk_f32 v21, v38, 0x3f3504f3, v31
	v_mov_b32_e32 v20, v30
	v_fmamk_f32 v55, v5, 0xbf3504f3, v14
	v_fma_f32 v5, v10, 2.0, -v7
	v_pk_add_f32 v[12:13], v[20:21], v[12:13] neg_lo:[0,1] neg_hi:[0,1]
	s_mov_b32 s0, 0x3f3504f3
	v_mul_f32_e32 v19, 0x3f3504f3, v38
	v_pk_add_f32 v[8:9], v[8:9], v[22:23] neg_lo:[0,1] neg_hi:[0,1]
	v_mov_b32_e32 v35, v11
	v_fmac_f32_e32 v11, 0x3f3504f3, v33
	v_mov_b32_e32 v10, v34
	v_pk_fma_f32 v[20:21], v[30:31], 2.0, v[12:13] op_sel_hi:[1,0,1] neg_lo:[0,0,1] neg_hi:[0,0,1]
	v_mul_f32_e32 v30, 0x3f6c835e, v5
	v_mul_f32_e32 v37, 0x3ec3ef15, v5
	v_mov_b32_e32 v52, 2.0
	v_mov_b32_e32 v53, v42
	v_mov_b32_e32 v5, v2
	s_mov_b32 s1, 0x3ec3ef15
	v_lshl_add_u32 v46, v0, 6, 0
	s_movk_i32 s2, 0xffc4
	v_pk_add_f32 v[10:11], v[10:11], v[18:19]
	v_pk_add_f32 v[56:57], v[42:43], v[42:43]
	v_pk_add_f32 v[52:53], v[42:43], v[52:53] neg_lo:[0,1] neg_hi:[0,1]
	v_mov_b32_e32 v43, v47
	v_mov_b32_e32 v23, v9
	v_add_f32_e32 v25, v2, v2
	v_pk_add_f32 v[16:17], v[4:5], v[16:17] neg_lo:[0,1] neg_hi:[0,1]
	s_mov_b32 s7, 2.0
	v_mad_i32_i24 v1, v0, s2, v46
	v_pk_add_f32 v[44:45], v[40:41], v[8:9] neg_lo:[0,1] neg_hi:[0,1]
	v_fmac_f32_e32 v55, 0xbf3504f3, v48
	v_pk_fma_f32 v[18:19], v[34:35], 2.0, v[10:11] op_sel_hi:[1,0,1] neg_lo:[0,0,1] neg_hi:[0,0,1]
	s_mov_b32 s3, 0x3f6c835e
	v_pk_mul_f32 v[48:49], v[20:21], s[0:1]
	s_mov_b32 s2, s0
	v_pk_add_f32 v[22:23], v[42:43], v[22:23]
	v_pk_add_f32 v[8:9], v[42:43], v[8:9] neg_lo:[0,1] neg_hi:[0,1]
	v_fma_f32 v2, v4, 2.0, -v16
	v_pk_add_f32 v[4:5], v[24:25], v[16:17] neg_lo:[0,1] neg_hi:[0,1]
	s_mov_b32 s6, s0
	v_pk_fma_f32 v[40:41], v[40:41], 2.0, v[44:45] op_sel_hi:[1,0,1] neg_lo:[0,0,1] neg_hi:[0,0,1]
	v_pk_mul_f32 v[58:59], v[18:19], s[2:3]
	v_mov_b32_e32 v23, v9
	v_mov_b32_e32 v35, v48
	v_fma_f32 v9, v24, 2.0, -v4
	v_pk_mul_f32 v[48:49], v[4:5], s[6:7]
	v_mul_f32_e32 v8, 0x3ec3ef15, v7
	v_mov_b32_e32 v57, v53
	v_mul_f32_e32 v16, 0x3f3504f3, v9
	v_fmamk_f32 v59, v9, 0xbf3504f3, v41
	v_mov_b32_e32 v9, v48
	v_pk_add_f32 v[56:57], v[56:57], v[22:23] neg_lo:[0,1] neg_hi:[0,1]
	v_sub_f32_e32 v23, v5, v2
	v_add_f32_e32 v28, v17, v51
	v_pk_add_f32 v[48:49], v[44:45], v[8:9]
	v_add_f32_e32 v52, v22, v22
	v_mul_f32_e32 v25, 0x3f3504f3, v28
	v_fmac_f32_e32 v22, 0x3f3504f3, v28
	v_mov_b32_e32 v48, v44
	v_mov_b32_e32 v24, v23
	v_pk_fma_f32 v[60:61], v[4:5], s[6:7], v[22:23]
	v_pk_fma_f32 v[4:5], v[4:5], s[6:7], v[22:23] neg_lo:[0,0,1] neg_hi:[0,0,1]
	v_pk_add_f32 v[22:23], v[48:49], v[24:25] neg_lo:[0,1] neg_hi:[0,1]
	v_mul_f32_e32 v50, 0x3f6c835e, v21
	v_pk_fma_f32 v[24:25], v[44:45], 2.0, v[22:23] op_sel_hi:[1,0,1] neg_lo:[0,0,1] neg_hi:[0,0,1]
	v_fma_f32 v53, v53, 2.0, -v57
	v_fma_f32 v2, v17, 2.0, -v28
	v_mov_b32_e32 v61, v5
	v_pk_fma_f32 v[20:21], v[20:21], s[0:1], v[24:25] neg_lo:[1,0,0] neg_hi:[1,0,0]
	v_fma_f32 v62, v14, 2.0, -v55
	v_mul_f32_e32 v38, 0x3ec3ef15, v19
	v_mov_b32_e32 v14, v56
	v_mul_f32_e32 v2, 0x3f3504f3, v2
	v_pk_add_f32 v[4:5], v[52:53], v[60:61] neg_lo:[0,1] neg_hi:[0,1]
	v_pk_fma_f32 v[18:19], v[18:19], s[2:3], v[20:21] neg_lo:[1,0,0] neg_hi:[1,0,0]
	v_mov_b32_e32 v28, v4
	v_pk_fma_f32 v[20:21], v[24:25], 2.0, v[18:19] op_sel_hi:[1,0,1] neg_lo:[0,0,1] neg_hi:[0,0,1]
	v_pk_add_f32 v[24:25], v[14:15], v[2:3] neg_lo:[0,1] neg_hi:[0,1]
	v_mov_b32_e32 v17, v57
	v_pk_add_f32 v[38:39], v[28:29], v[38:39] neg_lo:[0,1] neg_hi:[0,1]
	v_pk_add_f32 v[16:17], v[16:17], v[24:25]
	v_mov_b32_e32 v31, v58
	v_fma_f32 v36, v29, 2.0, -v39
	v_pk_fma_f32 v[28:29], v[56:57], 2.0, v[16:17] op_sel_hi:[1,0,1] neg_lo:[0,0,1] neg_hi:[0,0,1]
	v_fma_f32 v6, v6, 2.0, -v34
	v_mul_f32_e32 v34, 0x3ec3ef15, v62
	v_pk_add_f32 v[30:31], v[28:29], v[30:31] neg_lo:[0,1] neg_hi:[0,1]
	v_mov_b32_e32 v51, v5
	v_pk_add_f32 v[30:31], v[34:35], v[30:31]
	v_pk_add_f32 v[34:35], v[50:51], v[38:39]
	v_fma_f32 v14, v15, 2.0, -v25
	v_fma_f32 v25, v53, 2.0, -v5
	v_pk_fma_f32 v[28:29], v[28:29], 2.0, v[30:31] op_sel_hi:[1,0,1] neg_lo:[0,0,1] neg_hi:[0,0,1]
	v_pk_fma_f32 v[4:5], v[4:5], 2.0, v[34:35] op_sel_hi:[1,0,1] neg_lo:[0,0,1] neg_hi:[0,0,1]
	v_mov_b32_e32 v33, 0x3f6c835e
	v_add_f32_e32 v24, v60, v60
	v_fmac_f32_e32 v60, 0x3f6c835e, v11
	ds_write2_b32 v46, v28, v29 offset0:1 offset1:2
	ds_write2_b32 v46, v4, v5 offset0:3 offset1:4
	;; [unrolled: 1-line block ×4, first 2 shown]
	v_pk_add_f32 v[4:5], v[6:7], v[32:33] neg_lo:[0,1] neg_hi:[0,1]
	v_mov_b32_e32 v58, v40
	v_mov_b32_e32 v15, v2
	v_fmac_f32_e32 v60, 0x3ec3ef15, v13
	v_fma_f32 v61, v6, 2.0, -v4
	v_pk_add_f32 v[2:3], v[58:59], v[14:15] neg_lo:[0,1] neg_hi:[0,1]
	v_pk_mul_f32 v[28:29], v[6:7], s[2:3]
	v_pk_add_f32 v[6:7], v[24:25], v[60:61] neg_lo:[0,1] neg_hi:[0,1]
	v_pk_fma_f32 v[14:15], v[40:41], 2.0, v[2:3] op_sel_hi:[1,0,1] neg_lo:[0,0,1] neg_hi:[0,0,1]
	v_fma_f32 v9, v25, 2.0, -v7
	v_pk_mul_f32 v[24:25], v[10:11], s[0:1]
	v_fmamk_f32 v39, v62, 0xbf6c835e, v15
	v_mov_b32_e32 v38, v14
	ds_write2_b32 v46, v9, v60 offset1:15
	ds_write2_b32 v46, v6, v7 offset0:7 offset1:8
	v_pk_mul_f32 v[6:7], v[12:13], s[2:3]
	v_mov_b32_e32 v9, v24
	v_mul_f32_e32 v42, 0x3f6c835e, v55
	v_pk_add_f32 v[36:37], v[38:39], v[36:37] neg_lo:[0,1] neg_hi:[0,1]
	v_fmamk_f32 v39, v55, 0x3ec3ef15, v3
	v_mov_b32_e32 v5, v29
	v_mov_b32_e32 v38, v2
	v_pk_add_f32 v[8:9], v[16:17], v[8:9]
	v_mov_b32_e32 v43, v6
	v_pk_add_f32 v[4:5], v[38:39], v[4:5] neg_lo:[0,1] neg_hi:[0,1]
	v_pk_fma_f32 v[12:13], v[12:13], s[2:3], v[22:23]
	v_pk_add_f32 v[6:7], v[42:43], v[8:9]
	v_pk_fma_f32 v[14:15], v[14:15], 2.0, v[36:37] op_sel_hi:[1,0,1] neg_lo:[0,0,1] neg_hi:[0,0,1]
	v_pk_fma_f32 v[2:3], v[2:3], 2.0, v[4:5] op_sel_hi:[1,0,1] neg_lo:[0,0,1] neg_hi:[0,0,1]
	v_pk_fma_f32 v[10:11], v[10:11], s[0:1], v[12:13] neg_lo:[1,0,0] neg_hi:[1,0,0]
	v_pk_fma_f32 v[8:9], v[16:17], 2.0, v[6:7] op_sel_hi:[1,0,1] neg_lo:[0,0,1] neg_hi:[0,0,1]
	v_pk_fma_f32 v[12:13], v[22:23], 2.0, v[10:11] op_sel_hi:[1,0,1] neg_lo:[0,0,1] neg_hi:[0,0,1]
	ds_write2_b32 v46, v8, v9 offset0:5 offset1:6
	ds_write2_b32 v46, v6, v7 offset0:13 offset1:14
	s_waitcnt lgkmcnt(0)
	s_barrier
	ds_read2st64_b32 v[32:33], v1 offset1:4
	ds_read2st64_b32 v[34:35], v1 offset0:8 offset1:12
	ds_read2st64_b32 v[38:39], v1 offset0:16 offset1:20
	ds_read2st64_b32 v[40:41], v1 offset0:24 offset1:28
	ds_read2st64_b32 v[42:43], v1 offset0:32 offset1:36
	ds_read2st64_b32 v[44:45], v1 offset0:40 offset1:44
	ds_read2st64_b32 v[48:49], v1 offset0:48 offset1:52
	ds_read2st64_b32 v[50:51], v1 offset0:56 offset1:60
	s_waitcnt lgkmcnt(0)
	s_barrier
	ds_write2_b64 v46, v[14:15], v[20:21] offset1:1
	ds_write2_b64 v46, v[2:3], v[12:13] offset0:2 offset1:3
	ds_write2_b64 v46, v[36:37], v[18:19] offset0:4 offset1:5
	;; [unrolled: 1-line block ×3, first 2 shown]
	v_and_b32_e32 v2, 15, v0
	v_mul_u32_u24_e32 v2, 15, v2
	v_lshlrev_b32_e32 v47, 3, v2
	s_waitcnt lgkmcnt(0)
	s_barrier
	global_load_dwordx4 v[2:5], v47, s[4:5]
	global_load_dwordx4 v[6:9], v47, s[4:5] offset:16
	global_load_dwordx4 v[10:13], v47, s[4:5] offset:32
	;; [unrolled: 1-line block ×6, first 2 shown]
	global_load_dwordx2 v[36:37], v47, s[4:5] offset:112
	ds_read2st64_b32 v[52:53], v1 offset1:4
	ds_read2st64_b32 v[56:57], v1 offset0:8 offset1:12
	ds_read2st64_b32 v[58:59], v1 offset0:16 offset1:20
	v_lshlrev_b32_e32 v47, 4, v0
	s_movk_i32 s2, 0xf0f
	s_waitcnt vmcnt(7) lgkmcnt(2)
	v_mul_f32_e32 v55, v53, v3
	v_mul_f32_e32 v3, v33, v3
	v_fmac_f32_e32 v55, v33, v2
	v_fma_f32 v33, v53, v2, -v3
	s_waitcnt lgkmcnt(1)
	v_mul_f32_e32 v53, v56, v5
	v_mul_f32_e32 v2, v34, v5
	v_fmac_f32_e32 v53, v34, v4
	v_fma_f32 v34, v56, v4, -v2
	ds_read2st64_b32 v[2:3], v1 offset0:24 offset1:28
	s_waitcnt vmcnt(6)
	v_mul_f32_e32 v56, v57, v7
	v_mul_f32_e32 v7, v35, v7
	v_fmac_f32_e32 v56, v35, v6
	ds_read2st64_b32 v[4:5], v1 offset0:32 offset1:36
	v_fma_f32 v35, v57, v6, -v7
	s_waitcnt lgkmcnt(2)
	v_mul_f32_e32 v57, v58, v9
	v_mul_f32_e32 v6, v38, v9
	v_fmac_f32_e32 v57, v38, v8
	v_fma_f32 v38, v58, v8, -v6
	ds_read2st64_b32 v[6:7], v1 offset0:40 offset1:44
	s_waitcnt vmcnt(5)
	v_mul_f32_e32 v58, v59, v11
	v_mul_f32_e32 v11, v39, v11
	v_fmac_f32_e32 v58, v39, v10
	v_fma_f32 v39, v59, v10, -v11
	v_mul_f32_e32 v10, v40, v13
	ds_read2st64_b32 v[8:9], v1 offset0:48 offset1:52
	s_waitcnt lgkmcnt(3)
	v_mul_f32_e32 v59, v2, v13
	v_fma_f32 v2, v2, v12, -v10
	ds_read2st64_b32 v[10:11], v1 offset0:56 offset1:60
	v_fmac_f32_e32 v59, v40, v12
	s_waitcnt vmcnt(4)
	v_mul_f32_e32 v12, v3, v15
	v_mul_f32_e32 v13, v41, v15
	v_fmac_f32_e32 v12, v41, v14
	v_fma_f32 v3, v3, v14, -v13
	s_waitcnt lgkmcnt(3)
	v_mul_f32_e32 v13, v4, v17
	v_mul_f32_e32 v14, v42, v17
	s_waitcnt vmcnt(3)
	v_mul_f32_e32 v15, v43, v19
	v_fmac_f32_e32 v13, v42, v16
	v_fma_f32 v4, v4, v16, -v14
	v_mul_f32_e32 v14, v5, v19
	v_fma_f32 v5, v5, v18, -v15
	s_waitcnt lgkmcnt(2)
	v_mul_f32_e32 v15, v6, v21
	v_mul_f32_e32 v16, v44, v21
	v_fmac_f32_e32 v14, v43, v18
	v_fmac_f32_e32 v15, v44, v20
	v_fma_f32 v6, v6, v20, -v16
	s_waitcnt vmcnt(2)
	v_mul_f32_e32 v17, v45, v23
	v_mul_f32_e32 v18, v48, v25
	s_waitcnt vmcnt(1)
	v_mul_f32_e32 v19, v49, v29
	v_mul_f32_e32 v20, v50, v31
	v_mul_f32_e32 v16, v7, v23
	v_fma_f32 v7, v7, v22, -v17
	s_waitcnt lgkmcnt(1)
	v_mul_f32_e32 v17, v8, v25
	v_fma_f32 v8, v8, v24, -v18
	v_mul_f32_e32 v18, v9, v29
	v_fma_f32 v9, v9, v28, -v19
	s_waitcnt lgkmcnt(0)
	v_mul_f32_e32 v19, v10, v31
	v_fma_f32 v10, v10, v30, -v20
	v_fmac_f32_e32 v19, v50, v30
	v_sub_f32_e32 v13, v32, v13
	v_sub_f32_e32 v8, v38, v8
	;; [unrolled: 1-line block ×4, first 2 shown]
	v_fmac_f32_e32 v17, v48, v24
	s_waitcnt vmcnt(0)
	v_mul_f32_e32 v20, v11, v37
	v_mul_f32_e32 v21, v51, v37
	v_fma_f32 v24, v38, 2.0, -v8
	v_sub_f32_e32 v6, v34, v6
	v_sub_f32_e32 v19, v59, v19
	v_fma_f32 v2, v2, 2.0, -v10
	v_add_f32_e32 v8, v13, v8
	v_add_f32_e32 v10, v15, v10
	v_fmac_f32_e32 v16, v45, v22
	v_fmac_f32_e32 v18, v49, v28
	;; [unrolled: 1-line block ×3, first 2 shown]
	v_fma_f32 v11, v11, v36, -v21
	v_sub_f32_e32 v4, v52, v4
	v_fma_f32 v21, v32, 2.0, -v13
	v_sub_f32_e32 v17, v57, v17
	v_fma_f32 v25, v53, 2.0, -v15
	v_fma_f32 v29, v59, 2.0, -v19
	;; [unrolled: 1-line block ×3, first 2 shown]
	v_sub_f32_e32 v19, v6, v19
	v_fma_f32 v15, v15, 2.0, -v10
	v_fma_f32 v22, v52, 2.0, -v4
	;; [unrolled: 1-line block ×4, first 2 shown]
	v_sub_f32_e32 v14, v55, v14
	v_sub_f32_e32 v5, v33, v5
	;; [unrolled: 1-line block ×9, first 2 shown]
	v_fma_f32 v6, v6, 2.0, -v19
	v_fmamk_f32 v36, v15, 0xbf3504f3, v13
	v_fma_f32 v30, v55, 2.0, -v14
	v_fma_f32 v31, v33, 2.0, -v5
	;; [unrolled: 1-line block ×8, first 2 shown]
	v_sub_f32_e32 v23, v21, v23
	v_sub_f32_e32 v24, v22, v24
	v_fma_f32 v4, v4, 2.0, -v17
	v_sub_f32_e32 v29, v25, v29
	v_sub_f32_e32 v2, v28, v2
	v_fmac_f32_e32 v36, 0x3f3504f3, v6
	v_fma_f32 v25, v25, 2.0, -v29
	v_fma_f32 v28, v28, 2.0, -v2
	v_sub_f32_e32 v32, v30, v32
	v_sub_f32_e32 v33, v31, v33
	v_add_f32_e32 v9, v14, v9
	v_sub_f32_e32 v18, v5, v18
	v_sub_f32_e32 v12, v34, v12
	;; [unrolled: 1-line block ×3, first 2 shown]
	v_add_f32_e32 v11, v16, v11
	v_sub_f32_e32 v20, v7, v20
	v_fmamk_f32 v37, v6, 0xbf3504f3, v4
	v_fma_f32 v6, v13, 2.0, -v36
	v_add_f32_e32 v2, v23, v2
	v_sub_f32_e32 v13, v24, v29
	v_fmamk_f32 v29, v19, 0x3f3504f3, v17
	v_fma_f32 v21, v21, 2.0, -v23
	v_fma_f32 v22, v22, 2.0, -v24
	;; [unrolled: 1-line block ×10, first 2 shown]
	v_fmac_f32_e32 v37, 0xbf3504f3, v15
	v_fma_f32 v15, v23, 2.0, -v2
	v_fma_f32 v23, v24, 2.0, -v13
	v_fmamk_f32 v24, v10, 0x3f3504f3, v8
	v_fmac_f32_e32 v29, 0xbf3504f3, v10
	v_fmac_f32_e32 v24, 0x3f3504f3, v19
	v_fma_f32 v10, v17, 2.0, -v29
	v_sub_f32_e32 v17, v30, v34
	v_sub_f32_e32 v19, v31, v35
	v_fmamk_f32 v34, v16, 0xbf3504f3, v14
	v_fmamk_f32 v35, v7, 0xbf3504f3, v5
	v_sub_f32_e32 v12, v33, v12
	v_sub_f32_e32 v25, v21, v25
	v_fmac_f32_e32 v34, 0x3f3504f3, v7
	v_fmac_f32_e32 v35, 0xbf3504f3, v16
	v_fma_f32 v16, v33, 2.0, -v12
	v_fmamk_f32 v33, v20, 0x3f3504f3, v18
	v_fma_f32 v21, v21, 2.0, -v25
	v_fma_f32 v30, v30, 2.0, -v17
	;; [unrolled: 1-line block ×3, first 2 shown]
	v_add_f32_e32 v3, v32, v3
	v_fmac_f32_e32 v33, 0xbf3504f3, v11
	v_fma_f32 v4, v4, 2.0, -v37
	v_fma_f32 v5, v5, 2.0, -v35
	v_fma_f32 v14, v32, 2.0, -v3
	v_fmamk_f32 v32, v11, 0x3f3504f3, v9
	v_fma_f32 v11, v18, 2.0, -v33
	v_sub_f32_e32 v18, v21, v30
	v_fmamk_f32 v30, v7, 0xbf6c835e, v6
	v_fmamk_f32 v40, v5, 0xbf6c835e, v4
	v_fmac_f32_e32 v30, 0x3ec3ef15, v5
	v_fmac_f32_e32 v40, 0xbec3ef15, v7
	v_fma_f32 v5, v6, 2.0, -v30
	v_fmamk_f32 v6, v14, 0xbf3504f3, v15
	v_fmamk_f32 v7, v16, 0xbf3504f3, v23
	v_fmac_f32_e32 v32, 0x3f3504f3, v20
	v_fmac_f32_e32 v6, 0x3f3504f3, v16
	;; [unrolled: 1-line block ×3, first 2 shown]
	v_sub_f32_e32 v28, v22, v28
	v_fma_f32 v9, v9, 2.0, -v32
	v_fma_f32 v14, v15, 2.0, -v6
	;; [unrolled: 1-line block ×3, first 2 shown]
	v_fmamk_f32 v23, v11, 0xbec3ef15, v10
	v_fmamk_f32 v49, v12, 0x3f3504f3, v13
	v_fma_f32 v22, v22, 2.0, -v28
	v_fma_f32 v8, v8, 2.0, -v24
	v_fma_f32 v31, v31, 2.0, -v19
	v_fmac_f32_e32 v23, 0xbf6c835e, v9
	v_fmac_f32_e32 v49, 0xbf3504f3, v3
	v_sub_f32_e32 v20, v22, v31
	v_fmamk_f32 v16, v9, 0xbec3ef15, v8
	v_fma_f32 v9, v10, 2.0, -v23
	v_add_f32_e32 v10, v25, v19
	v_fmamk_f32 v31, v3, 0x3f3504f3, v2
	v_fma_f32 v3, v13, 2.0, -v49
	v_fmamk_f32 v13, v33, 0x3f6c835e, v29
	v_fmac_f32_e32 v16, 0x3f6c835e, v11
	v_sub_f32_e32 v11, v28, v17
	v_fma_f32 v17, v25, 2.0, -v10
	v_fmamk_f32 v25, v34, 0x3ec3ef15, v36
	v_fmac_f32_e32 v13, 0xbec3ef15, v32
	v_fmamk_f32 v41, v35, 0x3ec3ef15, v37
	v_fmac_f32_e32 v25, 0x3f6c835e, v35
	v_fmac_f32_e32 v31, 0x3f3504f3, v12
	v_fmamk_f32 v12, v32, 0x3f6c835e, v24
	v_fma_f32 v50, v29, 2.0, -v13
	v_bitop3_b32 v29, v47, s2, v0 bitop3:0xc8
	v_fma_f32 v21, v21, 2.0, -v18
	v_fma_f32 v19, v28, 2.0, -v11
	v_fmac_f32_e32 v41, 0xbf6c835e, v34
	v_fma_f32 v28, v36, 2.0, -v25
	v_fmac_f32_e32 v12, 0x3ec3ef15, v33
	v_lshl_add_u32 v47, v29, 2, 0
	v_fma_f32 v8, v8, 2.0, -v16
	v_fma_f32 v48, v37, 2.0, -v41
	v_fma_f32 v2, v2, 2.0, -v31
	v_fma_f32 v24, v24, 2.0, -v12
	s_barrier
	ds_write2_b32 v47, v21, v5 offset1:16
	ds_write2_b32 v47, v14, v8 offset0:32 offset1:48
	ds_write2_b32 v47, v17, v28 offset0:64 offset1:80
	;; [unrolled: 1-line block ×7, first 2 shown]
	s_waitcnt lgkmcnt(0)
	s_barrier
	ds_read2st64_b32 v[28:29], v1 offset1:4
	ds_read2st64_b32 v[34:35], v1 offset0:8 offset1:12
	ds_read2st64_b32 v[42:43], v1 offset0:16 offset1:20
	;; [unrolled: 1-line block ×7, first 2 shown]
	v_fma_f32 v22, v22, 2.0, -v20
	v_fma_f32 v4, v4, 2.0, -v40
	s_waitcnt lgkmcnt(0)
	s_barrier
	ds_write2_b32 v47, v22, v4 offset1:16
	ds_write2_b32 v47, v15, v9 offset0:32 offset1:48
	ds_write2_b32 v47, v19, v48 offset0:64 offset1:80
	;; [unrolled: 1-line block ×7, first 2 shown]
	s_waitcnt lgkmcnt(0)
	s_barrier
	s_and_saveexec_b64 s[6:7], vcc
	s_cbranch_execz .LBB0_13
; %bb.12:
	v_mul_u32_u24_e32 v1, 15, v0
	v_lshlrev_b32_e32 v1, 3, v1
	global_load_dwordx4 v[22:25], v1, s[4:5] offset:1952
	global_load_dwordx4 v[6:9], v1, s[4:5] offset:1936
	;; [unrolled: 1-line block ×7, first 2 shown]
	global_load_dwordx2 v[40:41], v1, s[4:5] offset:2032
	v_mul_i32_i24_e32 v47, 0xffffffc4, v0
	v_mov_b32_e32 v57, v30
	v_add_u32_e32 v30, v46, v47
	ds_read2st64_b32 v[58:59], v30 offset0:24 offset1:28
	ds_read2st64_b32 v[60:61], v30 offset0:16 offset1:20
	;; [unrolled: 1-line block ×4, first 2 shown]
	v_mov_b32_e32 v48, v44
	v_mov_b32_e32 v49, v42
	s_waitcnt lgkmcnt(3)
	v_mov_b32_e32 v64, v58
	s_waitcnt lgkmcnt(2)
	v_mov_b32_e32 v65, v60
	v_mov_b32_e32 v56, v32
	v_mad_u64_u32 v[0:1], s[4:5], s8, v54, 0
	v_mov_b32_e32 v42, v45
	v_or_b32_e32 v32, 0x100, v54
	v_mov_b32_e32 v60, v59
	s_mov_b32 s2, s3
	s_waitcnt vmcnt(7)
	v_mov_b32_e32 v66, v25
	s_waitcnt vmcnt(6)
	v_mov_b32_e32 v67, v9
	v_mov_b32_e32 v25, v8
	s_waitcnt vmcnt(5)
	v_mov_b32_e32 v8, v15
	v_mov_b32_e32 v9, v23
	;; [unrolled: 1-line block ×3, first 2 shown]
	v_pk_mul_f32 v[22:23], v[48:49], v[66:67]
	v_pk_mul_f32 v[68:69], v[48:49], v[24:25]
	v_pk_fma_f32 v[22:23], v[64:65], v[24:25], v[22:23] neg_lo:[0,0,1] neg_hi:[0,0,1]
	s_waitcnt lgkmcnt(0)
	v_mov_b32_e32 v24, v62
	v_mov_b32_e32 v25, v46
	s_waitcnt vmcnt(4)
	v_mov_b32_e32 v71, v52
	v_mov_b32_e32 v52, v17
	v_pk_fma_f32 v[48:49], v[64:65], v[66:67], v[68:69]
	v_mov_b32_e32 v64, v50
	s_waitcnt vmcnt(3)
	v_mov_b32_e32 v65, v2
	v_mov_b32_e32 v2, v51
	v_pk_mul_f32 v[50:51], v[56:57], v[52:53]
	v_pk_mul_f32 v[52:53], v[24:25], v[52:53]
	v_mov_b32_e32 v70, v16
	v_pk_fma_f32 v[50:51], v[24:25], v[70:71], v[50:51] neg_lo:[0,0,1] neg_hi:[0,0,1]
	v_mov_b32_e32 v24, v1
	v_pk_fma_f32 v[44:45], v[56:57], v[70:71], v[52:53]
	ds_read2st64_b32 v[56:57], v30 offset0:8 offset1:12
	ds_read2st64_b32 v[66:67], v30 offset0:56 offset1:60
	v_mad_u64_u32 v[24:25], s[4:5], s9, v54, v[24:25]
	s_waitcnt vmcnt(2)
	v_mov_b32_e32 v68, v18
	v_mov_b32_e32 v69, v6
	;; [unrolled: 1-line block ×3, first 2 shown]
	ds_read2st64_b32 v[18:19], v30 offset0:48 offset1:52
	v_mad_u64_u32 v[16:17], s[4:5], s8, v32, 0
	v_mov_b32_e32 v1, v24
	v_pk_mul_f32 v[24:25], v[42:43], v[8:9]
	v_pk_mul_f32 v[58:59], v[42:43], v[14:15]
	v_pk_fma_f32 v[24:25], v[60:61], v[14:15], v[24:25] neg_lo:[0,0,1] neg_hi:[0,0,1]
	v_mov_b32_e32 v14, v17
	v_mul_f32_e32 v46, v34, v21
	s_waitcnt lgkmcnt(2)
	v_mul_f32_e32 v53, v56, v21
	v_mad_u64_u32 v[14:15], s[4:5], s9, v32, v[14:15]
	v_fmac_f32_e32 v53, v34, v20
	v_fma_f32 v71, v56, v20, -v46
	v_mov_b32_e32 v17, v14
	v_mov_b32_e32 v14, v38
	;; [unrolled: 1-line block ×3, first 2 shown]
	s_waitcnt vmcnt(1)
	v_mov_b32_e32 v20, v13
	v_mov_b32_e32 v21, v5
	;; [unrolled: 1-line block ×3, first 2 shown]
	v_pk_fma_f32 v[42:43], v[60:61], v[8:9], v[58:59]
	s_waitcnt lgkmcnt(1)
	v_mov_b32_e32 v8, v66
	s_waitcnt lgkmcnt(0)
	v_mov_b32_e32 v9, v18
	v_pk_mul_f32 v[4:5], v[14:15], v[12:13]
	v_pk_mul_f32 v[14:15], v[14:15], v[20:21]
	v_pk_fma_f32 v[58:59], v[8:9], v[20:21], v[4:5]
	v_pk_fma_f32 v[60:61], v[8:9], v[12:13], v[14:15] neg_lo:[0,0,1] neg_hi:[0,0,1]
	v_or_b32_e32 v9, 0x200, v54
	v_mad_u64_u32 v[4:5], s[4:5], s8, v9, 0
	v_mov_b32_e32 v8, v5
	v_mov_b32_e32 v13, v11
	v_mad_u64_u32 v[8:9], s[4:5], s9, v9, v[8:9]
	v_or_b32_e32 v11, 0x300, v54
	v_mov_b32_e32 v5, v8
	v_mad_u64_u32 v[8:9], s[4:5], s8, v11, 0
	s_waitcnt vmcnt(0)
	v_mov_b32_e32 v12, v41
	v_mov_b32_e32 v41, v10
	;; [unrolled: 1-line block ×3, first 2 shown]
	v_mad_u64_u32 v[10:11], s[4:5], s9, v11, v[10:11]
	v_mov_b32_e32 v36, v39
	v_mov_b32_e32 v9, v10
	;; [unrolled: 1-line block ×3, first 2 shown]
	v_pk_mul_f32 v[10:11], v[36:37], v[40:41]
	v_or_b32_e32 v15, 0x500, v54
	v_pk_fma_f32 v[38:39], v[18:19], v[12:13], v[10:11]
	v_pk_mul_f32 v[10:11], v[36:37], v[12:13]
	v_or_b32_e32 v13, 0x400, v54
	v_pk_fma_f32 v[36:37], v[18:19], v[40:41], v[10:11] neg_lo:[0,0,1] neg_hi:[0,0,1]
	v_mad_u64_u32 v[10:11], s[4:5], s8, v13, 0
	v_mov_b32_e32 v12, v11
	v_mad_u64_u32 v[12:13], s[4:5], s9, v13, v[12:13]
	v_mov_b32_e32 v11, v12
	;; [unrolled: 2-line block ×3, first 2 shown]
	ds_read2st64_b32 v[40:41], v30 offset1:4
	v_mad_u64_u32 v[14:15], s[4:5], s9, v15, v[14:15]
	v_or_b32_e32 v19, 0x600, v54
	v_mov_b32_e32 v13, v14
	v_mad_u64_u32 v[14:15], s[4:5], s8, v19, 0
	v_mov_b32_e32 v18, v15
	v_mad_u64_u32 v[18:19], s[4:5], s9, v19, v[18:19]
	v_mov_b32_e32 v34, v29
	v_mov_b32_e32 v15, v18
	s_waitcnt lgkmcnt(0)
	v_mov_b32_e32 v56, v41
	v_pk_mul_f32 v[18:19], v[34:35], v[6:7]
	v_pk_mul_f32 v[6:7], v[56:57], v[6:7]
	v_pk_fma_f32 v[56:57], v[56:57], v[68:69], v[18:19] neg_lo:[0,0,1] neg_hi:[0,0,1]
	v_or_b32_e32 v19, 0x700, v54
	v_pk_fma_f32 v[66:67], v[34:35], v[68:69], v[6:7]
	v_mad_u64_u32 v[6:7], s[4:5], s8, v19, 0
	v_mov_b32_e32 v18, v7
	v_mad_u64_u32 v[18:19], s[4:5], s9, v19, v[18:19]
	v_or_b32_e32 v21, 0x800, v54
	v_mov_b32_e32 v7, v18
	v_mad_u64_u32 v[18:19], s[4:5], s8, v21, 0
	v_mov_b32_e32 v20, v19
	v_mad_u64_u32 v[20:21], s[4:5], s9, v21, v[20:21]
	v_or_b32_e32 v29, 0x900, v54
	v_mov_b32_e32 v19, v20
	v_mad_u64_u32 v[20:21], s[4:5], s8, v29, 0
	v_mov_b32_e32 v30, v21
	v_mad_u64_u32 v[34:35], s[4:5], s9, v29, v[30:31]
	v_mov_b32_e32 v46, v63
	v_mov_b32_e32 v30, v33
	v_pk_mul_f32 v[32:33], v[30:31], v[2:3]
	v_pk_mul_f32 v[2:3], v[46:47], v[2:3]
	v_or_b32_e32 v29, 0xa00, v54
	v_pk_fma_f32 v[30:31], v[30:31], v[64:65], v[2:3]
	v_mad_u64_u32 v[2:3], s[4:5], s8, v29, 0
	v_mov_b32_e32 v70, v40
	v_pk_fma_f32 v[46:47], v[46:47], v[64:65], v[32:33] neg_lo:[0,0,1] neg_hi:[0,0,1]
	v_mov_b32_e32 v32, v3
	v_pk_add_f32 v[40:41], v[70:71], v[50:51] neg_lo:[0,1] neg_hi:[0,1]
	v_pk_add_f32 v[50:51], v[48:49], v[58:59] neg_lo:[0,1] neg_hi:[0,1]
	;; [unrolled: 1-line block ×3, first 2 shown]
	v_mov_b32_e32 v52, v28
	v_mad_u64_u32 v[32:33], s[4:5], s9, v29, v[32:33]
	v_pk_add_f32 v[28:29], v[52:53], v[44:45] neg_lo:[0,1] neg_hi:[0,1]
	v_pk_fma_f32 v[44:45], v[70:71], 2.0, v[40:41] op_sel_hi:[1,0,1] neg_lo:[0,0,1] neg_hi:[0,0,1]
	v_pk_fma_f32 v[22:23], v[22:23], 2.0, v[58:59] op_sel_hi:[1,0,1] neg_lo:[0,0,1] neg_hi:[0,0,1]
	v_mov_b32_e32 v3, v32
	v_pk_add_f32 v[60:61], v[44:45], v[22:23] op_sel:[0,1] op_sel_hi:[1,0] neg_lo:[0,1] neg_hi:[0,1]
	v_pk_fma_f32 v[22:23], v[52:53], 2.0, v[28:29] op_sel_hi:[1,0,1] neg_lo:[0,0,1] neg_hi:[0,0,1]
	v_pk_fma_f32 v[32:33], v[48:49], 2.0, v[50:51] op_sel_hi:[1,0,1] neg_lo:[0,0,1] neg_hi:[0,0,1]
	v_mov_b32_e32 v21, v34
	v_pk_add_f32 v[48:49], v[22:23], v[32:33] op_sel:[1,0] op_sel_hi:[0,1] neg_lo:[0,1] neg_hi:[0,1]
	v_mov_b32_e32 v52, v22
	v_mov_b32_e32 v53, v44
	;; [unrolled: 1-line block ×5, first 2 shown]
	v_pk_add_f32 v[34:35], v[60:61], v[48:49]
	v_pk_add_f32 v[22:23], v[60:61], v[48:49] neg_lo:[0,1] neg_hi:[0,1]
	v_mov_b32_e32 v49, v61
	v_pk_add_f32 v[46:47], v[56:57], v[46:47] neg_lo:[0,1] neg_hi:[0,1]
	v_pk_add_f32 v[60:61], v[24:25], v[36:37] neg_lo:[0,1] neg_hi:[0,1]
	v_pk_fma_f32 v[44:45], v[44:45], 2.0, v[48:49] op_sel_hi:[1,0,1] neg_lo:[0,0,1] neg_hi:[0,0,1]
	v_pk_add_f32 v[48:49], v[42:43], v[38:39] neg_lo:[0,1] neg_hi:[0,1]
	v_pk_add_f32 v[30:31], v[66:67], v[30:31] neg_lo:[0,1] neg_hi:[0,1]
	v_pk_fma_f32 v[56:57], v[56:57], 2.0, v[46:47] op_sel_hi:[1,0,1] neg_lo:[0,0,1] neg_hi:[0,0,1]
	v_pk_fma_f32 v[24:25], v[24:25], 2.0, v[60:61] op_sel_hi:[1,0,1] neg_lo:[0,0,1] neg_hi:[0,0,1]
	;; [unrolled: 1-line block ×3, first 2 shown]
	v_pk_add_f32 v[36:37], v[56:57], v[24:25] op_sel:[0,1] op_sel_hi:[1,0] neg_lo:[0,1] neg_hi:[0,1]
	v_pk_fma_f32 v[24:25], v[66:67], 2.0, v[30:31] op_sel_hi:[1,0,1] neg_lo:[0,0,1] neg_hi:[0,0,1]
	v_mov_b32_e32 v42, v56
	v_pk_add_f32 v[38:39], v[24:25], v[38:39] op_sel:[1,0] op_sel_hi:[0,1] neg_lo:[0,1] neg_hi:[0,1]
	v_mov_b32_e32 v43, v24
	v_mov_b32_e32 v62, v36
	;; [unrolled: 1-line block ×6, first 2 shown]
	v_pk_fma_f32 v[42:43], v[42:43], 2.0, v[62:63] op_sel_hi:[1,0,1] neg_lo:[0,0,1] neg_hi:[0,0,1]
	v_pk_fma_f32 v[24:25], v[24:25], 2.0, v[56:57] op_sel_hi:[1,0,1] neg_lo:[0,0,1] neg_hi:[0,0,1]
	;; [unrolled: 1-line block ×3, first 2 shown]
	v_lshl_add_u64 v[56:57], v[0:1], 3, v[26:27]
	v_pk_add_f32 v[0:1], v[52:53], v[44:45] neg_lo:[0,1] neg_hi:[0,1]
	v_pk_add_f32 v[44:45], v[42:43], v[24:25] neg_lo:[0,1] neg_hi:[0,1]
	v_pk_fma_f32 v[52:53], v[52:53], 2.0, v[0:1] op_sel_hi:[1,0,1] neg_lo:[0,0,1] neg_hi:[0,0,1]
	v_pk_fma_f32 v[24:25], v[42:43], 2.0, v[44:45] op_sel_hi:[1,0,1] neg_lo:[0,0,1] neg_hi:[0,0,1]
	v_mov_b32_e32 v23, v50
	v_pk_add_f32 v[24:25], v[52:53], v[24:25] op_sel:[0,1] op_sel_hi:[1,0] neg_lo:[0,1] neg_hi:[0,1]
	v_mov_b32_e32 v34, v29
	v_pk_fma_f32 v[42:43], v[52:53], 2.0, v[24:25] op_sel_hi:[1,0,1] neg_lo:[0,0,1] neg_hi:[0,0,1]
	global_store_dwordx2 v[56:57], v[42:43], off
	v_pk_add_f32 v[42:43], v[40:41], v[22:23] neg_lo:[0,1] neg_hi:[0,1]
	v_mov_b32_e32 v23, v40
	v_pk_add_f32 v[52:53], v[34:35], v[58:59]
	v_mov_b32_e32 v34, v59
	v_pk_add_f32 v[50:51], v[22:23], v[50:51] neg_lo:[0,1] neg_hi:[0,1]
	v_pk_add_f32 v[56:57], v[28:29], v[34:35]
	v_mov_b32_e32 v53, v43
	v_mov_b32_e32 v42, v29
	;; [unrolled: 1-line block ×5, first 2 shown]
	v_pk_fma_f32 v[42:43], v[42:43], 2.0, v[52:53] op_sel_hi:[1,0,1] neg_lo:[0,0,1] neg_hi:[0,0,1]
	v_pk_fma_f32 v[50:51], v[28:29], 2.0, v[56:57] op_sel_hi:[1,0,1] neg_lo:[0,0,1] neg_hi:[0,0,1]
	v_pk_mul_f32 v[40:41], v[42:43], s[0:1] op_sel_hi:[1,0]
	v_pk_fma_f32 v[42:43], v[42:43], s[0:1], v[50:51] op_sel_hi:[1,0,1] neg_lo:[1,0,0] neg_hi:[1,0,0]
	v_mov_b32_e32 v23, v46
	v_pk_add_f32 v[28:29], v[42:43], v[40:41] op_sel:[0,1] op_sel_hi:[1,0]
	v_pk_add_f32 v[42:43], v[42:43], v[40:41] op_sel:[0,1] op_sel_hi:[1,0] neg_lo:[0,1] neg_hi:[0,1]
	v_pk_add_f32 v[40:41], v[22:23], v[48:49] neg_lo:[0,1] neg_hi:[0,1]
	v_mov_b32_e32 v23, v48
	v_mov_b32_e32 v34, v31
	v_pk_add_f32 v[48:49], v[46:47], v[22:23] neg_lo:[0,1] neg_hi:[0,1]
	v_pk_add_f32 v[58:59], v[34:35], v[60:61]
	v_mov_b32_e32 v34, v61
	v_mov_b32_e32 v59, v49
	v_pk_add_f32 v[48:49], v[30:31], v[34:35]
	v_mov_b32_e32 v60, v31
	v_mov_b32_e32 v61, v47
	v_mov_b32_e32 v31, v46
	v_mov_b32_e32 v49, v41
	v_pk_fma_f32 v[46:47], v[60:61], 2.0, v[58:59] op_sel_hi:[1,0,1] neg_lo:[0,0,1] neg_hi:[0,0,1]
	v_pk_fma_f32 v[30:31], v[30:31], 2.0, v[48:49] op_sel_hi:[1,0,1] neg_lo:[0,0,1] neg_hi:[0,0,1]
	v_pk_mul_f32 v[40:41], v[46:47], s[0:1] op_sel_hi:[1,0]
	v_pk_fma_f32 v[46:47], v[46:47], s[0:1], v[30:31] op_sel_hi:[1,0,1] neg_lo:[1,0,0] neg_hi:[1,0,0]
	v_fma_f32 v34, v51, 2.0, -v43
	v_pk_add_f32 v[60:61], v[46:47], v[40:41] op_sel:[0,1] op_sel_hi:[1,0]
	v_pk_add_f32 v[46:47], v[46:47], v[40:41] op_sel:[0,1] op_sel_hi:[1,0] neg_lo:[0,1] neg_hi:[0,1]
	v_fma_f32 v29, v30, 2.0, -v60
	v_fma_f32 v23, v31, 2.0, -v47
	;; [unrolled: 1-line block ×3, first 2 shown]
	v_fmamk_f32 v31, v23, 0xbf6c835e, v34
	v_fmamk_f32 v30, v29, 0xbf6c835e, v40
	v_fmac_f32_e32 v31, 0xbec3ef15, v29
	v_fmac_f32_e32 v30, 0x3ec3ef15, v23
	v_or_b32_e32 v23, 0xb00, v54
	v_lshl_add_u64 v[16:17], v[16:17], 3, v[26:27]
	v_fma_f32 v41, v34, 2.0, -v31
	v_fma_f32 v40, v40, 2.0, -v30
	v_mad_u64_u32 v[50:51], s[4:5], s8, v23, 0
	global_store_dwordx2 v[16:17], v[40:41], off
	v_mov_b32_e32 v16, v51
	v_mad_u64_u32 v[16:17], s[4:5], s9, v23, v[16:17]
	v_or_b32_e32 v17, 0xc00, v54
	v_mad_u64_u32 v[62:63], s[4:5], s8, v17, 0
	v_mov_b32_e32 v51, v16
	v_mov_b32_e32 v16, v63
	v_mad_u64_u32 v[16:17], s[4:5], s9, v17, v[16:17]
	v_or_b32_e32 v17, 0xd00, v54
	v_mad_u64_u32 v[64:65], s[4:5], s8, v17, 0
	v_mov_b32_e32 v63, v16
	;; [unrolled: 5-line block ×3, first 2 shown]
	v_mov_b32_e32 v16, v67
	v_mad_u64_u32 v[16:17], s[4:5], s9, v17, v[16:17]
	v_mov_b32_e32 v29, v43
	v_mov_b32_e32 v61, v47
	s_mov_b32 s4, s1
	v_pk_mul_f32 v[42:43], v[60:61], s[2:3] op_sel_hi:[1,0]
	v_pk_fma_f32 v[46:47], v[60:61], s[4:5], v[28:29] op_sel_hi:[1,0,1]
	v_pk_add_f32 v[68:69], v[36:37], v[38:39]
	v_pk_add_f32 v[60:61], v[46:47], v[42:43] op_sel:[0,1] op_sel_hi:[1,0]
	v_pk_add_f32 v[42:43], v[46:47], v[42:43] op_sel:[0,1] op_sel_hi:[1,0] neg_lo:[0,1] neg_hi:[0,1]
	v_pk_add_f32 v[70:71], v[36:37], v[38:39] neg_lo:[0,1] neg_hi:[0,1]
	v_mov_b32_e32 v61, v43
	v_pk_add_f32 v[42:43], v[0:1], v[44:45]
	v_pk_add_f32 v[44:45], v[0:1], v[44:45] neg_lo:[0,1] neg_hi:[0,1]
	v_pk_fma_f32 v[46:47], v[52:53], s[0:1], v[56:57] op_sel_hi:[1,0,1]
	v_mov_b32_e32 v43, v45
	v_pk_mul_f32 v[44:45], v[52:53], s[0:1] op_sel_hi:[1,0]
	v_mov_b32_e32 v23, v35
	v_mov_b32_e32 v71, v69
	v_pk_add_f32 v[52:53], v[46:47], v[44:45] op_sel:[0,1] op_sel_hi:[1,0]
	v_pk_add_f32 v[44:45], v[46:47], v[44:45] op_sel:[0,1] op_sel_hi:[1,0] neg_lo:[0,1] neg_hi:[0,1]
	v_pk_mul_f32 v[46:47], v[58:59], s[0:1] op_sel_hi:[1,0]
	v_pk_fma_f32 v[58:59], v[58:59], s[0:1], v[48:49] op_sel_hi:[1,0,1]
	v_mov_b32_e32 v34, v35
	v_mov_b32_e32 v35, v22
	v_pk_mul_f32 v[40:41], v[70:71], s[0:1] op_sel_hi:[1,0]
	v_pk_fma_f32 v[72:73], v[70:71], s[0:1], v[22:23] op_sel_hi:[1,0,1]
	v_mov_b32_e32 v68, v69
	v_mov_b32_e32 v69, v70
	v_pk_add_f32 v[70:71], v[58:59], v[46:47] op_sel:[0,1] op_sel_hi:[1,0]
	v_pk_add_f32 v[46:47], v[58:59], v[46:47] op_sel:[0,1] op_sel_hi:[1,0] neg_lo:[0,1] neg_hi:[0,1]
	v_pk_fma_f32 v[32:33], v[32:33], 2.0, v[34:35] op_sel_hi:[1,0,1] neg_lo:[0,0,1] neg_hi:[0,0,1]
	v_mov_b32_e32 v34, v39
	v_mov_b32_e32 v35, v36
	;; [unrolled: 1-line block ×3, first 2 shown]
	v_fmamk_f32 v58, v70, 0x3f6c835e, v52
	v_mov_b32_e32 v53, v45
	v_pk_fma_f32 v[34:35], v[34:35], 2.0, v[68:69] op_sel_hi:[1,0,1] neg_lo:[0,0,1] neg_hi:[0,0,1]
	v_fmamk_f32 v59, v47, 0x3f6c835e, v45
	v_fmac_f32_e32 v58, 0x3ec3ef15, v47
	v_pk_fma_f32 v[46:47], v[56:57], 2.0, v[52:53] op_sel_hi:[1,0,1] neg_lo:[0,0,1] neg_hi:[0,0,1]
	v_pk_fma_f32 v[48:49], v[48:49], 2.0, v[70:71] op_sel_hi:[1,0,1] neg_lo:[0,0,1] neg_hi:[0,0,1]
	v_pk_mul_f32 v[36:37], v[34:35], s[0:1] op_sel_hi:[1,0]
	v_pk_fma_f32 v[34:35], v[34:35], s[0:1], v[32:33] op_sel_hi:[1,0,1] neg_lo:[1,0,0] neg_hi:[1,0,0]
	v_fma_f32 v44, v52, 2.0, -v58
	v_pk_mul_f32 v[52:53], v[48:49], s[2:3] op_sel_hi:[1,0]
	v_pk_fma_f32 v[48:49], v[48:49], s[4:5], v[46:47] op_sel_hi:[1,0,1] neg_lo:[1,0,0] neg_hi:[1,0,0]
	v_pk_add_f32 v[38:39], v[34:35], v[36:37] op_sel:[0,1] op_sel_hi:[1,0]
	v_pk_add_f32 v[34:35], v[34:35], v[36:37] op_sel:[0,1] op_sel_hi:[1,0] neg_lo:[0,1] neg_hi:[0,1]
	v_pk_add_f32 v[56:57], v[48:49], v[52:53] op_sel:[0,1] op_sel_hi:[1,0]
	v_pk_add_f32 v[48:49], v[48:49], v[52:53] op_sel:[0,1] op_sel_hi:[1,0] neg_lo:[0,1] neg_hi:[0,1]
	v_mov_b32_e32 v39, v35
	v_mov_b32_e32 v57, v49
	v_lshl_add_u64 v[4:5], v[4:5], 3, v[26:27]
	v_pk_fma_f32 v[32:33], v[32:33], 2.0, v[38:39] op_sel_hi:[1,0,1] neg_lo:[0,0,1] neg_hi:[0,0,1]
	v_mov_b32_e32 v67, v16
	v_pk_add_f32 v[16:17], v[72:73], v[40:41] op_sel:[0,1] op_sel_hi:[1,0]
	v_pk_add_f32 v[40:41], v[72:73], v[40:41] op_sel:[0,1] op_sel_hi:[1,0] neg_lo:[0,1] neg_hi:[0,1]
	v_lshl_add_u64 v[8:9], v[8:9], 3, v[26:27]
	v_lshl_add_u64 v[10:11], v[10:11], 3, v[26:27]
	global_store_dwordx2 v[4:5], v[32:33], off
	v_pk_fma_f32 v[4:5], v[46:47], 2.0, v[56:57] op_sel_hi:[1,0,1] neg_lo:[0,0,1] neg_hi:[0,0,1]
	v_pk_fma_f32 v[0:1], v[0:1], 2.0, v[42:43] op_sel_hi:[1,0,1] neg_lo:[0,0,1] neg_hi:[0,0,1]
	v_lshl_add_u64 v[12:13], v[12:13], 3, v[26:27]
	v_mov_b32_e32 v41, v17
	global_store_dwordx2 v[8:9], v[4:5], off
	global_store_dwordx2 v[10:11], v[0:1], off
	v_pk_fma_f32 v[0:1], v[28:29], 2.0, v[60:61] op_sel_hi:[1,0,1] neg_lo:[0,0,1] neg_hi:[0,0,1]
	global_store_dwordx2 v[12:13], v[0:1], off
	v_pk_fma_f32 v[0:1], v[22:23], 2.0, v[40:41] op_sel_hi:[1,0,1] neg_lo:[0,0,1] neg_hi:[0,0,1]
	v_fmac_f32_e32 v59, 0xbec3ef15, v70
	v_lshl_add_u64 v[14:15], v[14:15], 3, v[26:27]
	v_lshl_add_u64 v[2:3], v[2:3], 3, v[26:27]
	v_mov_b32_e32 v4, v1
	v_mov_b32_e32 v5, v0
	v_fma_f32 v45, v45, 2.0, -v59
	v_lshl_add_u64 v[6:7], v[6:7], 3, v[26:27]
	v_lshl_add_u64 v[18:19], v[18:19], 3, v[26:27]
	;; [unrolled: 1-line block ×7, first 2 shown]
	global_store_dwordx2 v[14:15], v[4:5], off
	global_store_dwordx2 v[6:7], v[44:45], off
	;; [unrolled: 1-line block ×8, first 2 shown]
	v_mov_b32_e32 v0, v17
	v_mov_b32_e32 v1, v40
	v_or_b32_e32 v3, 0xf00, v54
	global_store_dwordx2 v[50:51], v[0:1], off
	v_mad_u64_u32 v[0:1], s[0:1], s8, v3, 0
	v_mov_b32_e32 v2, v1
	v_mad_u64_u32 v[2:3], s[0:1], s9, v3, v[2:3]
	v_mov_b32_e32 v1, v2
	v_lshl_add_u64 v[0:1], v[0:1], 3, v[26:27]
	global_store_dwordx2 v[0:1], v[58:59], off
.LBB0_13:
	s_endpgm
	.section	.rodata,"a",@progbits
	.p2align	6, 0x0
	.amdhsa_kernel fft_rtc_back_len4096_factors_16_16_16_wgs_256_tpt_256_halfLds_sp_ip_CI_sbrr_dirReg
		.amdhsa_group_segment_fixed_size 0
		.amdhsa_private_segment_fixed_size 0
		.amdhsa_kernarg_size 88
		.amdhsa_user_sgpr_count 2
		.amdhsa_user_sgpr_dispatch_ptr 0
		.amdhsa_user_sgpr_queue_ptr 0
		.amdhsa_user_sgpr_kernarg_segment_ptr 1
		.amdhsa_user_sgpr_dispatch_id 0
		.amdhsa_user_sgpr_kernarg_preload_length 0
		.amdhsa_user_sgpr_kernarg_preload_offset 0
		.amdhsa_user_sgpr_private_segment_size 0
		.amdhsa_uses_dynamic_stack 0
		.amdhsa_enable_private_segment 0
		.amdhsa_system_sgpr_workgroup_id_x 1
		.amdhsa_system_sgpr_workgroup_id_y 0
		.amdhsa_system_sgpr_workgroup_id_z 0
		.amdhsa_system_sgpr_workgroup_info 0
		.amdhsa_system_vgpr_workitem_id 0
		.amdhsa_next_free_vgpr 74
		.amdhsa_next_free_sgpr 24
		.amdhsa_accum_offset 76
		.amdhsa_reserve_vcc 1
		.amdhsa_float_round_mode_32 0
		.amdhsa_float_round_mode_16_64 0
		.amdhsa_float_denorm_mode_32 3
		.amdhsa_float_denorm_mode_16_64 3
		.amdhsa_dx10_clamp 1
		.amdhsa_ieee_mode 1
		.amdhsa_fp16_overflow 0
		.amdhsa_tg_split 0
		.amdhsa_exception_fp_ieee_invalid_op 0
		.amdhsa_exception_fp_denorm_src 0
		.amdhsa_exception_fp_ieee_div_zero 0
		.amdhsa_exception_fp_ieee_overflow 0
		.amdhsa_exception_fp_ieee_underflow 0
		.amdhsa_exception_fp_ieee_inexact 0
		.amdhsa_exception_int_div_zero 0
	.end_amdhsa_kernel
	.text
.Lfunc_end0:
	.size	fft_rtc_back_len4096_factors_16_16_16_wgs_256_tpt_256_halfLds_sp_ip_CI_sbrr_dirReg, .Lfunc_end0-fft_rtc_back_len4096_factors_16_16_16_wgs_256_tpt_256_halfLds_sp_ip_CI_sbrr_dirReg
                                        ; -- End function
	.section	.AMDGPU.csdata,"",@progbits
; Kernel info:
; codeLenInByte = 7560
; NumSgprs: 30
; NumVgprs: 74
; NumAgprs: 0
; TotalNumVgprs: 74
; ScratchSize: 0
; MemoryBound: 0
; FloatMode: 240
; IeeeMode: 1
; LDSByteSize: 0 bytes/workgroup (compile time only)
; SGPRBlocks: 3
; VGPRBlocks: 9
; NumSGPRsForWavesPerEU: 30
; NumVGPRsForWavesPerEU: 74
; AccumOffset: 76
; Occupancy: 6
; WaveLimiterHint : 1
; COMPUTE_PGM_RSRC2:SCRATCH_EN: 0
; COMPUTE_PGM_RSRC2:USER_SGPR: 2
; COMPUTE_PGM_RSRC2:TRAP_HANDLER: 0
; COMPUTE_PGM_RSRC2:TGID_X_EN: 1
; COMPUTE_PGM_RSRC2:TGID_Y_EN: 0
; COMPUTE_PGM_RSRC2:TGID_Z_EN: 0
; COMPUTE_PGM_RSRC2:TIDIG_COMP_CNT: 0
; COMPUTE_PGM_RSRC3_GFX90A:ACCUM_OFFSET: 18
; COMPUTE_PGM_RSRC3_GFX90A:TG_SPLIT: 0
	.text
	.p2alignl 6, 3212836864
	.fill 256, 4, 3212836864
	.type	__hip_cuid_6f91db4805a0412f,@object ; @__hip_cuid_6f91db4805a0412f
	.section	.bss,"aw",@nobits
	.globl	__hip_cuid_6f91db4805a0412f
__hip_cuid_6f91db4805a0412f:
	.byte	0                               ; 0x0
	.size	__hip_cuid_6f91db4805a0412f, 1

	.ident	"AMD clang version 19.0.0git (https://github.com/RadeonOpenCompute/llvm-project roc-6.4.0 25133 c7fe45cf4b819c5991fe208aaa96edf142730f1d)"
	.section	".note.GNU-stack","",@progbits
	.addrsig
	.addrsig_sym __hip_cuid_6f91db4805a0412f
	.amdgpu_metadata
---
amdhsa.kernels:
  - .agpr_count:     0
    .args:
      - .actual_access:  read_only
        .address_space:  global
        .offset:         0
        .size:           8
        .value_kind:     global_buffer
      - .offset:         8
        .size:           8
        .value_kind:     by_value
      - .actual_access:  read_only
        .address_space:  global
        .offset:         16
        .size:           8
        .value_kind:     global_buffer
      - .actual_access:  read_only
        .address_space:  global
        .offset:         24
        .size:           8
        .value_kind:     global_buffer
      - .offset:         32
        .size:           8
        .value_kind:     by_value
      - .actual_access:  read_only
        .address_space:  global
        .offset:         40
        .size:           8
        .value_kind:     global_buffer
      - .actual_access:  read_only
        .address_space:  global
        .offset:         48
        .size:           8
        .value_kind:     global_buffer
      - .offset:         56
        .size:           4
        .value_kind:     by_value
      - .actual_access:  read_only
        .address_space:  global
        .offset:         64
        .size:           8
        .value_kind:     global_buffer
      - .actual_access:  read_only
        .address_space:  global
        .offset:         72
        .size:           8
        .value_kind:     global_buffer
      - .address_space:  global
        .offset:         80
        .size:           8
        .value_kind:     global_buffer
    .group_segment_fixed_size: 0
    .kernarg_segment_align: 8
    .kernarg_segment_size: 88
    .language:       OpenCL C
    .language_version:
      - 2
      - 0
    .max_flat_workgroup_size: 256
    .name:           fft_rtc_back_len4096_factors_16_16_16_wgs_256_tpt_256_halfLds_sp_ip_CI_sbrr_dirReg
    .private_segment_fixed_size: 0
    .sgpr_count:     30
    .sgpr_spill_count: 0
    .symbol:         fft_rtc_back_len4096_factors_16_16_16_wgs_256_tpt_256_halfLds_sp_ip_CI_sbrr_dirReg.kd
    .uniform_work_group_size: 1
    .uses_dynamic_stack: false
    .vgpr_count:     74
    .vgpr_spill_count: 0
    .wavefront_size: 64
amdhsa.target:   amdgcn-amd-amdhsa--gfx950
amdhsa.version:
  - 1
  - 2
...

	.end_amdgpu_metadata
